;; amdgpu-corpus repo=ROCm/rocFFT kind=compiled arch=gfx906 opt=O3
	.text
	.amdgcn_target "amdgcn-amd-amdhsa--gfx906"
	.amdhsa_code_object_version 6
	.protected	bluestein_single_back_len24_dim1_half_op_CI_CI ; -- Begin function bluestein_single_back_len24_dim1_half_op_CI_CI
	.globl	bluestein_single_back_len24_dim1_half_op_CI_CI
	.p2align	8
	.type	bluestein_single_back_len24_dim1_half_op_CI_CI,@function
bluestein_single_back_len24_dim1_half_op_CI_CI: ; @bluestein_single_back_len24_dim1_half_op_CI_CI
; %bb.0:
	s_load_dwordx4 s[0:3], s[4:5], 0x28
	v_lshrrev_b32_e32 v1, 3, v0
	v_lshl_or_b32 v4, s6, 5, v1
	v_mov_b32_e32 v5, 0
	s_waitcnt lgkmcnt(0)
	v_cmp_gt_u64_e32 vcc, s[0:1], v[4:5]
	s_and_saveexec_b64 s[0:1], vcc
	s_cbranch_execz .LBB0_15
; %bb.1:
	s_load_dwordx2 s[12:13], s[4:5], 0x0
	s_load_dwordx2 s[6:7], s[4:5], 0x38
	v_and_b32_e32 v12, 7, v0
	v_mul_u32_u24_e32 v15, 24, v1
	v_cmp_gt_u32_e32 vcc, 3, v12
	v_lshlrev_b32_e32 v13, 2, v12
	v_or_b32_e32 v9, v15, v12
	v_add_lshl_u32 v1, v15, v12, 2
	v_or_b32_e32 v11, 12, v12
	s_and_saveexec_b64 s[14:15], vcc
	s_cbranch_execz .LBB0_3
; %bb.2:
	s_load_dwordx2 s[0:1], s[4:5], 0x18
	s_waitcnt lgkmcnt(0)
	s_load_dwordx4 s[8:11], s[0:1], 0x0
	s_waitcnt lgkmcnt(0)
	v_mad_u64_u32 v[2:3], s[0:1], s10, v4, 0
	v_mad_u64_u32 v[5:6], s[0:1], s8, v12, 0
	v_mov_b32_e32 v0, v3
	v_mov_b32_e32 v3, v6
	v_mad_u64_u32 v[6:7], s[0:1], s11, v4, v[0:1]
	v_mad_u64_u32 v[7:8], s[0:1], s9, v12, v[3:4]
	v_mov_b32_e32 v3, v6
	v_lshlrev_b64 v[2:3], 2, v[2:3]
	v_mov_b32_e32 v6, v7
	v_mov_b32_e32 v0, s3
	v_lshlrev_b64 v[5:6], 2, v[5:6]
	v_add_co_u32_e64 v10, s[0:1], s2, v2
	v_addc_co_u32_e64 v14, s[0:1], v0, v3, s[0:1]
	v_add_co_u32_e64 v2, s[0:1], v10, v5
	v_addc_co_u32_e64 v3, s[0:1], v14, v6, s[0:1]
	s_mul_i32 s0, s9, 12
	s_mul_hi_u32 s1, s8, 12
	s_add_i32 s2, s1, s0
	s_mul_i32 s3, s8, 12
	v_mov_b32_e32 v0, s2
	v_add_co_u32_e64 v5, s[0:1], s3, v2
	v_addc_co_u32_e64 v6, s[0:1], v3, v0, s[0:1]
	v_mad_u64_u32 v[7:8], s[0:1], s8, v11, 0
	global_load_dword v16, v[2:3], off
	global_load_dword v17, v13, s[12:13]
	v_add_co_u32_e64 v2, s[0:1], s3, v5
	v_addc_co_u32_e64 v3, s[0:1], v6, v0, s[0:1]
	v_mov_b32_e32 v0, v8
	global_load_dword v18, v[5:6], off
	global_load_dword v19, v13, s[12:13] offset:12
	v_mad_u64_u32 v[5:6], s[0:1], s9, v11, v[0:1]
	v_mov_b32_e32 v0, s2
	global_load_dword v20, v[2:3], off
	global_load_dword v21, v13, s[12:13] offset:24
	v_add_co_u32_e64 v2, s[0:1], s3, v2
	v_addc_co_u32_e64 v3, s[0:1], v3, v0, s[0:1]
	global_load_dword v22, v[2:3], off
	global_load_dword v23, v13, s[12:13] offset:36
	v_mad_u64_u32 v[2:3], s[0:1], s8, 24, v[2:3]
	v_mov_b32_e32 v8, v5
	v_lshlrev_b64 v[5:6], 2, v[7:8]
	v_mov_b32_e32 v0, v3
	v_add_co_u32_e64 v5, s[0:1], v10, v5
	v_addc_co_u32_e64 v6, s[0:1], v14, v6, s[0:1]
	v_mad_u64_u32 v[7:8], s[0:1], s9, 24, v[0:1]
	global_load_dword v0, v[5:6], off
	global_load_dword v8, v13, s[12:13] offset:48
	v_mov_b32_e32 v10, s2
	v_mov_b32_e32 v3, v7
	global_load_dword v5, v[2:3], off
	global_load_dword v6, v13, s[12:13] offset:60
	global_load_dword v7, v13, s[12:13] offset:72
	v_add_co_u32_e64 v2, s[0:1], s3, v2
	v_addc_co_u32_e64 v3, s[0:1], v3, v10, s[0:1]
	global_load_dword v10, v[2:3], off
	v_mov_b32_e32 v14, s2
	v_add_co_u32_e64 v2, s[0:1], s3, v2
	v_addc_co_u32_e64 v3, s[0:1], v3, v14, s[0:1]
	global_load_dword v14, v[2:3], off
	global_load_dword v24, v13, s[12:13] offset:84
	v_lshlrev_b32_e32 v2, 2, v9
	s_waitcnt vmcnt(15)
	v_lshrrev_b32_e32 v3, 16, v16
	s_waitcnt vmcnt(14)
	v_mul_f16_sdwa v25, v17, v16 dst_sel:DWORD dst_unused:UNUSED_PAD src0_sel:WORD_1 src1_sel:DWORD
	v_fma_f16 v25, v17, v3, -v25
	v_mul_f16_sdwa v3, v17, v3 dst_sel:DWORD dst_unused:UNUSED_PAD src0_sel:WORD_1 src1_sel:DWORD
	v_fma_f16 v3, v17, v16, v3
	v_pack_b32_f16 v3, v3, v25
	s_waitcnt vmcnt(13)
	v_lshrrev_b32_e32 v26, 16, v18
	s_waitcnt vmcnt(12)
	v_mul_f16_sdwa v27, v19, v18 dst_sel:DWORD dst_unused:UNUSED_PAD src0_sel:WORD_1 src1_sel:DWORD
	v_fma_f16 v16, v19, v26, -v27
	v_mul_f16_sdwa v17, v19, v26 dst_sel:DWORD dst_unused:UNUSED_PAD src0_sel:WORD_1 src1_sel:DWORD
	s_waitcnt vmcnt(11)
	v_lshrrev_b32_e32 v26, 16, v20
	s_waitcnt vmcnt(10)
	v_mul_f16_sdwa v27, v21, v20 dst_sel:DWORD dst_unused:UNUSED_PAD src0_sel:WORD_1 src1_sel:DWORD
	v_fma_f16 v17, v19, v18, v17
	v_mul_f16_sdwa v19, v21, v26 dst_sel:DWORD dst_unused:UNUSED_PAD src0_sel:WORD_1 src1_sel:DWORD
	v_fma_f16 v18, v21, v26, -v27
	s_waitcnt vmcnt(9)
	v_lshrrev_b32_e32 v25, 16, v22
	s_waitcnt vmcnt(8)
	v_mul_f16_sdwa v26, v23, v22 dst_sel:DWORD dst_unused:UNUSED_PAD src0_sel:WORD_1 src1_sel:DWORD
	ds_write_b32 v2, v3
	v_fma_f16 v2, v21, v20, v19
	v_mul_f16_sdwa v19, v23, v25 dst_sel:DWORD dst_unused:UNUSED_PAD src0_sel:WORD_1 src1_sel:DWORD
	v_fma_f16 v3, v23, v25, -v26
	v_fma_f16 v19, v23, v22, v19
	v_pack_b32_f16 v16, v17, v16
	ds_write_b32 v1, v16 offset:12
	v_pack_b32_f16 v2, v2, v18
	v_lshl_add_u32 v16, v15, 2, v13
	v_pack_b32_f16 v3, v19, v3
	ds_write2_b32 v16, v2, v3 offset0:6 offset1:9
	s_waitcnt vmcnt(7)
	v_lshrrev_b32_e32 v2, 16, v0
	s_waitcnt vmcnt(6)
	v_mul_f16_sdwa v3, v8, v2 dst_sel:DWORD dst_unused:UNUSED_PAD src0_sel:WORD_1 src1_sel:DWORD
	v_fma_f16 v3, v8, v0, v3
	v_mul_f16_sdwa v0, v8, v0 dst_sel:DWORD dst_unused:UNUSED_PAD src0_sel:WORD_1 src1_sel:DWORD
	v_fma_f16 v0, v8, v2, -v0
	s_waitcnt vmcnt(5)
	v_lshrrev_b32_e32 v2, 16, v5
	v_pack_b32_f16 v0, v3, v0
	s_waitcnt vmcnt(4)
	v_mul_f16_sdwa v3, v6, v2 dst_sel:DWORD dst_unused:UNUSED_PAD src0_sel:WORD_1 src1_sel:DWORD
	v_fma_f16 v3, v6, v5, v3
	v_mul_f16_sdwa v5, v6, v5 dst_sel:DWORD dst_unused:UNUSED_PAD src0_sel:WORD_1 src1_sel:DWORD
	v_fma_f16 v2, v6, v2, -v5
	v_pack_b32_f16 v2, v3, v2
	ds_write2_b32 v16, v0, v2 offset0:12 offset1:15
	s_waitcnt vmcnt(2)
	v_lshrrev_b32_e32 v0, 16, v10
	v_mul_f16_sdwa v2, v7, v0 dst_sel:DWORD dst_unused:UNUSED_PAD src0_sel:WORD_1 src1_sel:DWORD
	v_mul_f16_sdwa v3, v7, v10 dst_sel:DWORD dst_unused:UNUSED_PAD src0_sel:WORD_1 src1_sel:DWORD
	v_fma_f16 v2, v7, v10, v2
	v_fma_f16 v0, v7, v0, -v3
	v_pack_b32_f16 v0, v2, v0
	s_waitcnt vmcnt(1)
	v_lshrrev_b32_e32 v2, 16, v14
	s_waitcnt vmcnt(0)
	v_mul_f16_sdwa v3, v24, v2 dst_sel:DWORD dst_unused:UNUSED_PAD src0_sel:WORD_1 src1_sel:DWORD
	v_mul_f16_sdwa v5, v24, v14 dst_sel:DWORD dst_unused:UNUSED_PAD src0_sel:WORD_1 src1_sel:DWORD
	v_fma_f16 v3, v24, v14, v3
	v_fma_f16 v2, v24, v2, -v5
	v_pack_b32_f16 v2, v3, v2
	ds_write2_b32 v16, v0, v2 offset0:18 offset1:21
.LBB0_3:
	s_or_b64 exec, exec, s[14:15]
	s_load_dwordx2 s[2:3], s[4:5], 0x20
	s_load_dwordx2 s[0:1], s[4:5], 0x8
	v_lshlrev_b32_e32 v10, 2, v15
	s_waitcnt lgkmcnt(0)
	s_barrier
	s_waitcnt lgkmcnt(0)
                                        ; implicit-def: $vgpr7
                                        ; implicit-def: $vgpr2
                                        ; implicit-def: $vgpr0
                                        ; implicit-def: $vgpr5
                                        ; implicit-def: $vgpr8
	s_and_saveexec_b64 s[4:5], vcc
	s_cbranch_execz .LBB0_5
; %bb.4:
	v_lshlrev_b32_e32 v0, 2, v9
	v_lshl_add_u32 v5, v12, 2, v10
	ds_read_b32 v7, v0
	ds_read_b32 v8, v1 offset:12
	ds_read2_b32 v[0:1], v5 offset0:6 offset1:9
	ds_read2_b32 v[2:3], v5 offset0:12 offset1:15
	;; [unrolled: 1-line block ×3, first 2 shown]
.LBB0_5:
	s_or_b64 exec, exec, s[4:5]
	s_waitcnt lgkmcnt(1)
	v_pk_add_f16 v2, v7, v2 neg_lo:[0,1] neg_hi:[0,1]
	s_waitcnt lgkmcnt(0)
	v_pk_add_f16 v5, v0, v5 neg_lo:[0,1] neg_hi:[0,1]
	v_sub_f16_sdwa v18, v2, v5 dst_sel:DWORD dst_unused:UNUSED_PAD src0_sel:DWORD src1_sel:WORD_1
	v_pk_add_f16 v17, v8, v3 neg_lo:[0,1] neg_hi:[0,1]
	v_pk_add_f16 v6, v1, v6 neg_lo:[0,1] neg_hi:[0,1]
	v_lshrrev_b32_e32 v14, 16, v2
	v_fma_f16 v3, v2, 2.0, -v18
	v_pk_fma_f16 v2, v7, 2.0, v2 op_sel_hi:[1,0,1] neg_lo:[0,0,1] neg_hi:[0,0,1]
	v_pk_fma_f16 v0, v0, 2.0, v5 op_sel_hi:[1,0,1] neg_lo:[0,0,1] neg_hi:[0,0,1]
	v_add_f16_e32 v22, v5, v14
	v_pk_fma_f16 v5, v8, 2.0, v17 op_sel_hi:[1,0,1] neg_lo:[0,0,1] neg_hi:[0,0,1]
	v_pk_fma_f16 v7, v1, 2.0, v6 op_sel_hi:[1,0,1] neg_lo:[0,0,1] neg_hi:[0,0,1]
	v_pk_add_f16 v1, v2, v0 neg_lo:[0,1] neg_hi:[0,1]
	v_pk_fma_f16 v16, v2, 2.0, v1 op_sel_hi:[1,0,1] neg_lo:[0,0,1] neg_hi:[0,0,1]
	v_pk_add_f16 v2, v5, v7 neg_lo:[0,1] neg_hi:[0,1]
	v_lshrrev_b32_e32 v7, 16, v17
	v_pk_fma_f16 v0, v5, 2.0, v2 op_sel_hi:[1,0,1] neg_lo:[0,0,1] neg_hi:[0,0,1]
	v_sub_f16_sdwa v5, v17, v6 dst_sel:DWORD dst_unused:UNUSED_PAD src0_sel:DWORD src1_sel:WORD_1
	v_add_f16_e32 v19, v6, v7
	v_fma_f16 v14, v14, 2.0, -v22
	v_fma_f16 v6, v17, 2.0, -v5
	;; [unrolled: 1-line block ×3, first 2 shown]
	s_mov_b32 s4, 0xb9a8
	v_fma_f16 v8, v6, s4, v3
	v_fma_f16 v17, v7, s4, v14
	s_movk_i32 s5, 0x39a8
	v_fma_f16 v7, v7, s4, v8
	v_fma_f16 v20, v6, s5, v17
	v_pk_add_f16 v8, v1, v2 op_sel:[0,1] op_sel_hi:[1,0] neg_lo:[0,1] neg_hi:[0,1]
	v_pk_add_f16 v6, v1, v2 op_sel:[0,1] op_sel_hi:[1,0]
	v_fma_f16 v2, v5, s5, v18
	v_fma_f16 v17, v19, s5, v22
	;; [unrolled: 1-line block ×4, first 2 shown]
	v_pk_add_f16 v0, v16, v0 neg_lo:[0,1] neg_hi:[0,1]
	v_fma_f16 v5, v18, 2.0, -v19
	v_fma_f16 v18, v22, 2.0, -v21
	v_lshlrev_b32_e32 v17, 3, v12
	s_barrier
	s_and_saveexec_b64 s[4:5], vcc
	s_cbranch_execz .LBB0_7
; %bb.6:
	s_mov_b32 s8, 0xffff
	v_bfi_b32 v2, s8, v8, v6
	v_fma_f16 v3, v3, 2.0, -v7
	v_fma_f16 v14, v14, 2.0, -v20
	s_mov_b32 s8, 0x5040100
	v_add_lshl_u32 v26, v15, v17, 2
	v_pk_fma_f16 v22, v16, 2.0, v0 op_sel_hi:[1,0,1] neg_lo:[0,0,1] neg_hi:[0,0,1]
	v_pk_fma_f16 v24, v1, 2.0, v2 op_sel_hi:[1,0,1] neg_lo:[0,0,1] neg_hi:[0,0,1]
	v_pack_b32_f16 v23, v3, v14
	v_perm_b32 v25, v18, v5, s8
	v_perm_b32 v3, v21, v19, s8
	;; [unrolled: 1-line block ×3, first 2 shown]
	ds_write_b128 v26, v[22:25]
	ds_write_b128 v26, v[0:3] offset:16
.LBB0_7:
	s_or_b64 exec, exec, s[4:5]
	s_load_dwordx4 s[8:11], s[2:3], 0x0
	s_waitcnt lgkmcnt(0)
	s_barrier
	global_load_dwordx2 v[1:2], v17, s[0:1]
	v_lshlrev_b32_e32 v16, 2, v9
	ds_read2_b32 v[22:23], v16 offset1:8
	ds_read_b32 v3, v16 offset:64
	v_lshl_add_u32 v14, v12, 2, v10
	s_movk_i32 s0, 0x3aee
	s_mov_b32 s1, 0xbaee
	s_waitcnt lgkmcnt(1)
	v_lshrrev_b32_e32 v10, 16, v23
	s_waitcnt lgkmcnt(0)
	v_lshrrev_b32_e32 v24, 16, v3
	v_lshrrev_b32_e32 v9, 16, v22
	s_waitcnt vmcnt(0)
	v_mul_f16_sdwa v25, v10, v1 dst_sel:DWORD dst_unused:UNUSED_PAD src0_sel:DWORD src1_sel:WORD_1
	v_mul_f16_sdwa v26, v23, v1 dst_sel:DWORD dst_unused:UNUSED_PAD src0_sel:DWORD src1_sel:WORD_1
	;; [unrolled: 1-line block ×4, first 2 shown]
	v_fma_f16 v23, v23, v1, -v25
	v_fma_f16 v10, v10, v1, v26
	v_fma_f16 v3, v3, v2, -v27
	v_fma_f16 v24, v24, v2, v28
	v_add_f16_e32 v25, v22, v23
	v_add_f16_e32 v26, v23, v3
	v_sub_f16_e32 v27, v10, v24
	v_add_f16_e32 v28, v9, v10
	v_add_f16_e32 v10, v10, v24
	v_sub_f16_e32 v23, v23, v3
	v_add_f16_e32 v3, v25, v3
	v_fma_f16 v25, v26, -0.5, v22
	v_add_f16_e32 v22, v28, v24
	v_fma_f16 v26, v10, -0.5, v9
	v_fma_f16 v9, v27, s0, v25
	v_fma_f16 v10, v27, s1, v25
	;; [unrolled: 1-line block ×4, first 2 shown]
	v_pack_b32_f16 v25, v3, v22
	ds_write_b32 v16, v25
	v_pack_b32_f16 v25, v9, v24
	v_pack_b32_f16 v26, v10, v23
	ds_write2_b32 v14, v25, v26 offset0:8 offset1:16
	s_waitcnt lgkmcnt(0)
	s_barrier
	s_and_saveexec_b64 s[0:1], vcc
	s_cbranch_execz .LBB0_9
; %bb.8:
	global_load_dword v25, v13, s[12:13] offset:96
	s_add_u32 s2, s12, 0x60
	s_addc_u32 s3, s13, 0
	global_load_dword v31, v13, s[2:3] offset:12
	global_load_dword v32, v13, s[2:3] offset:24
	;; [unrolled: 1-line block ×7, first 2 shown]
	ds_read_b32 v26, v16
	s_waitcnt lgkmcnt(0)
	v_lshrrev_b32_e32 v27, 16, v26
	s_waitcnt vmcnt(7)
	v_mul_f16_sdwa v28, v27, v25 dst_sel:DWORD dst_unused:UNUSED_PAD src0_sel:DWORD src1_sel:WORD_1
	v_mul_f16_sdwa v29, v26, v25 dst_sel:DWORD dst_unused:UNUSED_PAD src0_sel:DWORD src1_sel:WORD_1
	v_fma_f16 v26, v26, v25, -v28
	v_fma_f16 v25, v27, v25, v29
	v_pack_b32_f16 v25, v26, v25
	ds_write_b32 v16, v25
	ds_read2_b32 v[25:26], v14 offset0:3 offset1:6
	ds_read2_b32 v[27:28], v14 offset0:9 offset1:12
	;; [unrolled: 1-line block ×3, first 2 shown]
	ds_read_b32 v38, v14 offset:84
	s_waitcnt lgkmcnt(3)
	v_lshrrev_b32_e32 v39, 16, v25
	s_waitcnt vmcnt(6)
	v_mul_f16_sdwa v40, v25, v31 dst_sel:DWORD dst_unused:UNUSED_PAD src0_sel:DWORD src1_sel:WORD_1
	v_lshrrev_b32_e32 v41, 16, v26
	s_waitcnt vmcnt(5)
	v_mul_f16_sdwa v42, v26, v32 dst_sel:DWORD dst_unused:UNUSED_PAD src0_sel:DWORD src1_sel:WORD_1
	s_waitcnt lgkmcnt(2)
	v_lshrrev_b32_e32 v43, 16, v27
	s_waitcnt vmcnt(4)
	v_mul_f16_sdwa v44, v27, v33 dst_sel:DWORD dst_unused:UNUSED_PAD src0_sel:DWORD src1_sel:WORD_1
	v_lshrrev_b32_e32 v45, 16, v28
	s_waitcnt vmcnt(3)
	v_mul_f16_sdwa v46, v28, v34 dst_sel:DWORD dst_unused:UNUSED_PAD src0_sel:DWORD src1_sel:WORD_1
	;; [unrolled: 7-line block ×3, first 2 shown]
	s_waitcnt lgkmcnt(0)
	v_lshrrev_b32_e32 v51, 16, v38
	v_fma_f16 v40, v39, v31, v40
	v_mul_f16_sdwa v39, v39, v31 dst_sel:DWORD dst_unused:UNUSED_PAD src0_sel:DWORD src1_sel:WORD_1
	v_mul_f16_sdwa v53, v41, v32 dst_sel:DWORD dst_unused:UNUSED_PAD src0_sel:DWORD src1_sel:WORD_1
	s_waitcnt vmcnt(0)
	v_mul_f16_sdwa v52, v38, v37 dst_sel:DWORD dst_unused:UNUSED_PAD src0_sel:DWORD src1_sel:WORD_1
	v_fma_f16 v41, v41, v32, v42
	v_mul_f16_sdwa v42, v43, v33 dst_sel:DWORD dst_unused:UNUSED_PAD src0_sel:DWORD src1_sel:WORD_1
	v_fma_f16 v43, v43, v33, v44
	;; [unrolled: 2-line block ×5, first 2 shown]
	v_mul_f16_sdwa v50, v51, v37 dst_sel:DWORD dst_unused:UNUSED_PAD src0_sel:DWORD src1_sel:WORD_1
	v_fma_f16 v25, v25, v31, -v39
	v_fma_f16 v26, v26, v32, -v53
	v_fma_f16 v51, v51, v37, v52
	v_fma_f16 v27, v27, v33, -v42
	v_fma_f16 v28, v28, v34, -v44
	;; [unrolled: 1-line block ×5, first 2 shown]
	v_pack_b32_f16 v25, v25, v40
	v_pack_b32_f16 v26, v26, v41
	;; [unrolled: 1-line block ×7, first 2 shown]
	ds_write2_b32 v14, v25, v26 offset0:3 offset1:6
	ds_write2_b32 v14, v27, v28 offset0:9 offset1:12
	;; [unrolled: 1-line block ×3, first 2 shown]
	ds_write_b32 v14, v31 offset:84
.LBB0_9:
	s_or_b64 exec, exec, s[0:1]
	v_lshrrev_b32_e32 v25, 16, v6
	s_waitcnt lgkmcnt(0)
	s_barrier
	s_and_saveexec_b64 s[0:1], vcc
	s_cbranch_execz .LBB0_11
; %bb.10:
	ds_read_b32 v3, v16
	ds_read2_b32 v[9:10], v14 offset0:3 offset1:6
	ds_read2_b32 v[5:6], v14 offset0:9 offset1:12
	;; [unrolled: 1-line block ×3, first 2 shown]
	ds_read_b32 v19, v14 offset:84
	s_waitcnt lgkmcnt(4)
	v_lshrrev_b32_e32 v22, 16, v3
	s_waitcnt lgkmcnt(3)
	v_lshrrev_b32_e32 v24, 16, v9
	v_lshrrev_b32_e32 v23, 16, v10
	s_waitcnt lgkmcnt(2)
	v_lshrrev_b32_e32 v18, 16, v5
	s_waitcnt lgkmcnt(1)
	v_lshrrev_b32_e32 v20, 16, v7
	v_lshrrev_b32_e32 v25, 16, v8
	s_waitcnt lgkmcnt(0)
	v_lshrrev_b32_e32 v21, 16, v19
	v_mov_b32_e32 v0, v6
.LBB0_11:
	s_or_b64 exec, exec, s[0:1]
	s_barrier
	s_and_saveexec_b64 s[0:1], vcc
	s_cbranch_execz .LBB0_13
; %bb.12:
	v_sub_f16_e32 v6, v23, v25
	v_sub_f16_e32 v25, v3, v0
	;; [unrolled: 1-line block ×4, first 2 shown]
	v_add_f16_e32 v26, v6, v25
	v_sub_f16_e32 v20, v24, v20
	v_sub_f16_e32 v19, v5, v19
	v_add_f16_e32 v28, v21, v7
	s_movk_i32 s2, 0x39a8
	v_sub_f16_sdwa v0, v22, v0 dst_sel:DWORD dst_unused:UNUSED_PAD src0_sel:DWORD src1_sel:WORD_1
	v_sub_f16_e32 v8, v10, v8
	v_sub_f16_e32 v27, v20, v19
	v_fma_f16 v29, v28, s2, v26
	v_sub_f16_e32 v31, v0, v8
	v_fma_f16 v3, v3, 2.0, -v25
	v_fma_f16 v8, v10, 2.0, -v8
	;; [unrolled: 1-line block ×6, first 2 shown]
	v_fma_f16 v29, v27, s2, v29
	s_mov_b32 s3, 0xb9a8
	v_sub_f16_e32 v8, v3, v8
	v_fma_f16 v10, v24, 2.0, -v20
	v_fma_f16 v18, v18, 2.0, -v21
	v_sub_f16_e32 v6, v22, v6
	v_sub_f16_e32 v5, v9, v5
	v_fma_f16 v25, v25, 2.0, -v26
	v_fma_f16 v7, v7, 2.0, -v28
	;; [unrolled: 1-line block ×3, first 2 shown]
	v_sub_f16_e32 v18, v10, v18
	v_sub_f16_e32 v19, v6, v5
	v_fma_f16 v20, v20, 2.0, -v27
	v_fma_f16 v26, v7, s3, v25
	v_fma_f16 v0, v0, 2.0, -v31
	v_fma_f16 v3, v3, 2.0, -v8
	;; [unrolled: 1-line block ×3, first 2 shown]
	v_fma_f16 v32, v27, s2, v31
	v_fma_f16 v23, v6, 2.0, -v19
	v_fma_f16 v26, v20, s2, v26
	v_fma_f16 v20, v20, s3, v0
	v_sub_f16_e32 v9, v3, v5
	v_fma_f16 v5, v22, 2.0, -v6
	v_fma_f16 v6, v10, 2.0, -v18
	v_fma_f16 v32, v28, s3, v32
	v_add_f16_e32 v21, v18, v8
	v_fma_f16 v20, v7, s3, v20
	v_sub_f16_e32 v10, v5, v6
	v_fma_f16 v33, v31, 2.0, -v32
	v_fma_f16 v24, v8, 2.0, -v21
	;; [unrolled: 1-line block ×6, first 2 shown]
	v_add_lshl_u32 v15, v15, v17, 2
	v_pack_b32_f16 v8, v30, v33
	v_pack_b32_f16 v7, v24, v23
	;; [unrolled: 1-line block ×4, first 2 shown]
	ds_write_b128 v15, v[5:8]
	v_pack_b32_f16 v8, v29, v32
	v_pack_b32_f16 v7, v21, v19
	;; [unrolled: 1-line block ×4, first 2 shown]
	ds_write_b128 v15, v[5:8] offset:16
.LBB0_13:
	s_or_b64 exec, exec, s[0:1]
	s_waitcnt lgkmcnt(0)
	s_barrier
	ds_read2_b32 v[5:6], v16 offset1:8
	ds_read_b32 v0, v16 offset:64
	s_mov_b32 s0, 0xbaee
	s_movk_i32 s1, 0x3aee
	s_waitcnt lgkmcnt(1)
	v_lshrrev_b32_e32 v7, 16, v6
	v_mul_f16_sdwa v9, v1, v7 dst_sel:DWORD dst_unused:UNUSED_PAD src0_sel:WORD_1 src1_sel:DWORD
	s_waitcnt lgkmcnt(0)
	v_lshrrev_b32_e32 v8, 16, v0
	v_fma_f16 v9, v1, v6, v9
	v_mul_f16_sdwa v6, v1, v6 dst_sel:DWORD dst_unused:UNUSED_PAD src0_sel:WORD_1 src1_sel:DWORD
	v_fma_f16 v1, v1, v7, -v6
	v_mul_f16_sdwa v6, v2, v8 dst_sel:DWORD dst_unused:UNUSED_PAD src0_sel:WORD_1 src1_sel:DWORD
	v_fma_f16 v6, v2, v0, v6
	v_mul_f16_sdwa v0, v2, v0 dst_sel:DWORD dst_unused:UNUSED_PAD src0_sel:WORD_1 src1_sel:DWORD
	v_fma_f16 v0, v2, v8, -v0
	v_add_f16_e32 v7, v9, v6
	v_lshrrev_b32_e32 v3, 16, v5
	v_add_f16_e32 v2, v5, v9
	v_fma_f16 v5, v7, -0.5, v5
	v_sub_f16_e32 v7, v1, v0
	v_fma_f16 v8, v7, s0, v5
	v_fma_f16 v5, v7, s1, v5
	v_add_f16_e32 v7, v3, v1
	v_add_f16_e32 v7, v7, v0
	v_add_f16_e32 v0, v1, v0
	v_add_f16_e32 v2, v2, v6
	v_fma_f16 v0, v0, -0.5, v3
	v_sub_f16_e32 v1, v9, v6
	v_fma_f16 v3, v1, s1, v0
	v_fma_f16 v0, v1, s0, v0
	v_pack_b32_f16 v1, v2, v7
	ds_write_b32 v16, v1
	v_pack_b32_f16 v1, v8, v3
	v_pack_b32_f16 v0, v5, v0
	ds_write2_b32 v14, v1, v0 offset0:8 offset1:16
	s_waitcnt lgkmcnt(0)
	s_barrier
	s_and_b64 exec, exec, vcc
	s_cbranch_execz .LBB0_15
; %bb.14:
	global_load_dword v9, v13, s[12:13]
	global_load_dword v8, v13, s[12:13] offset:12
	v_mad_u64_u32 v[2:3], s[0:1], s10, v4, 0
	ds_read2_b32 v[0:1], v14 offset0:3 offset1:6
	ds_read_b32 v17, v16
	ds_read_b32 v10, v14 offset:84
	global_load_dword v21, v13, s[12:13] offset:24
	global_load_dword v22, v13, s[12:13] offset:36
	;; [unrolled: 1-line block ×6, first 2 shown]
	v_mad_u64_u32 v[3:4], s[0:1], s11, v4, v[3:4]
	s_waitcnt lgkmcnt(1)
	v_lshrrev_b32_e32 v4, 16, v17
	v_mad_u64_u32 v[5:6], s[0:1], s8, v12, 0
	v_mov_b32_e32 v7, 0x7c00
	s_mov_b32 s14, 0x55555555
	s_mov_b32 s15, 0x3fa55555
	s_movk_i32 s18, 0x1ff
	s_movk_i32 s17, 0xffe
	;; [unrolled: 1-line block ×3, first 2 shown]
	s_mov_b32 s10, 0x8000
	v_lshlrev_b64 v[2:3], 2, v[2:3]
	s_waitcnt vmcnt(7)
	v_mul_f16_sdwa v13, v4, v9 dst_sel:DWORD dst_unused:UNUSED_PAD src0_sel:DWORD src1_sel:WORD_1
	v_fma_f16 v13, v17, v9, v13
	v_mul_f16_sdwa v17, v17, v9 dst_sel:DWORD dst_unused:UNUSED_PAD src0_sel:DWORD src1_sel:WORD_1
	v_cvt_f32_f16_e32 v13, v13
	v_fma_f16 v4, v9, v4, -v17
	v_cvt_f32_f16_e32 v4, v4
	v_lshrrev_b32_e32 v9, 16, v0
	v_cvt_f64_f32_e32 v[17:18], v13
	v_mad_u64_u32 v[12:13], s[0:1], s9, v12, v[6:7]
	v_cvt_f64_f32_e32 v[19:20], v4
	v_mul_f64 v[17:18], v[17:18], s[14:15]
	v_mov_b32_e32 v6, v12
	s_waitcnt vmcnt(6)
	v_mul_f16_sdwa v4, v9, v8 dst_sel:DWORD dst_unused:UNUSED_PAD src0_sel:DWORD src1_sel:WORD_1
	v_mul_f64 v[12:13], v[19:20], s[14:15]
	v_fma_f16 v4, v0, v8, v4
	v_cvt_f32_f16_e32 v4, v4
	v_mul_f16_sdwa v0, v0, v8 dst_sel:DWORD dst_unused:UNUSED_PAD src0_sel:DWORD src1_sel:WORD_1
	v_fma_f16 v0, v8, v9, -v0
	v_and_or_b32 v17, v18, s18, v17
	v_cmp_ne_u32_e32 vcc, 0, v17
	v_lshrrev_b32_e32 v19, 8, v18
	v_and_or_b32 v12, v13, s18, v12
	v_bfe_u32 v20, v18, 20, 11
	v_cndmask_b32_e64 v17, 0, 1, vcc
	v_cmp_ne_u32_e32 vcc, 0, v12
	v_lshrrev_b32_e32 v25, 8, v13
	v_bfe_u32 v26, v13, 20, 11
	v_sub_u32_e32 v27, 0x3f1, v20
	v_cndmask_b32_e64 v12, 0, 1, vcc
	v_and_or_b32 v17, v19, s17, v17
	v_sub_u32_e32 v28, 0x3f1, v26
	v_med3_i32 v19, v27, 0, 13
	v_and_or_b32 v12, v25, s17, v12
	v_or_b32_e32 v27, 0x1000, v17
	v_add_u32_e32 v20, 0xfffffc10, v20
	v_med3_i32 v25, v28, 0, 13
	v_cmp_ne_u32_e32 vcc, 0, v17
	v_or_b32_e32 v29, 0x1000, v12
	v_lshrrev_b32_e32 v31, v19, v27
	v_add_u32_e32 v26, 0xfffffc10, v26
	v_lshl_or_b32 v28, v20, 12, v17
	v_cndmask_b32_e64 v17, 0, 1, vcc
	v_cmp_ne_u32_e32 vcc, 0, v12
	v_lshrrev_b32_e32 v32, v25, v29
	v_lshlrev_b32_e32 v19, v19, v31
	v_lshl_or_b32 v30, v26, 12, v12
	v_cndmask_b32_e64 v12, 0, 1, vcc
	v_lshlrev_b32_e32 v25, v25, v32
	v_cmp_ne_u32_e32 vcc, v19, v27
	v_cndmask_b32_e64 v19, 0, 1, vcc
	v_cmp_ne_u32_e32 vcc, v25, v29
	v_cndmask_b32_e64 v25, 0, 1, vcc
	v_or_b32_e32 v19, v31, v19
	v_cmp_gt_i32_e32 vcc, 1, v20
	v_cndmask_b32_e32 v19, v28, v19, vcc
	v_or_b32_e32 v25, v32, v25
	v_cmp_gt_i32_e32 vcc, 1, v26
	v_and_b32_e32 v27, 7, v19
	v_cndmask_b32_e32 v25, v30, v25, vcc
	v_cmp_lt_i32_e32 vcc, 5, v27
	v_cmp_eq_u32_e64 s[0:1], 3, v27
	v_lshrrev_b32_e32 v19, 2, v19
	v_and_b32_e32 v28, 7, v25
	s_or_b64 vcc, s[0:1], vcc
	v_cmp_lt_i32_e64 s[2:3], 5, v28
	v_cmp_eq_u32_e64 s[4:5], 3, v28
	v_addc_co_u32_e32 v19, vcc, 0, v19, vcc
	v_lshrrev_b32_e32 v25, 2, v25
	s_or_b64 vcc, s[4:5], s[2:3]
	v_addc_co_u32_e32 v25, vcc, 0, v25, vcc
	v_cmp_gt_i32_e32 vcc, 31, v20
	v_cndmask_b32_e32 v19, v7, v19, vcc
	v_cmp_gt_i32_e32 vcc, 31, v26
	v_lshl_or_b32 v17, v17, 9, v7
	v_cndmask_b32_e32 v25, v7, v25, vcc
	v_cmp_eq_u32_e32 vcc, s16, v20
	v_lshrrev_b32_e32 v18, 16, v18
	v_lshl_or_b32 v12, v12, 9, v7
	v_cndmask_b32_e32 v17, v19, v17, vcc
	v_cmp_eq_u32_e32 vcc, s16, v26
	v_lshrrev_b32_e32 v13, 16, v13
	v_cndmask_b32_e32 v12, v25, v12, vcc
	v_and_or_b32 v17, v18, s10, v17
	v_and_or_b32 v12, v13, s10, v12
	v_and_b32_e32 v13, 0xffff, v17
	v_lshl_or_b32 v17, v12, 16, v13
	v_cvt_f64_f32_e32 v[12:13], v4
	v_mov_b32_e32 v18, s7
	v_add_co_u32_e32 v19, vcc, s6, v2
	v_addc_co_u32_e32 v18, vcc, v18, v3, vcc
	v_mul_f64 v[2:3], v[12:13], s[14:15]
	v_lshlrev_b64 v[4:5], 2, v[5:6]
	v_cvt_f32_f16_e32 v0, v0
	v_add_co_u32_e32 v4, vcc, v19, v4
	v_addc_co_u32_e32 v5, vcc, v18, v5, vcc
	global_store_dword v[4:5], v17, off
	v_and_or_b32 v2, v3, s18, v2
	v_cmp_ne_u32_e32 vcc, 0, v2
	v_cndmask_b32_e64 v2, 0, 1, vcc
	v_lshrrev_b32_e32 v6, 8, v3
	v_bfe_u32 v17, v3, 20, 11
	v_and_or_b32 v2, v6, s17, v2
	v_sub_u32_e32 v20, 0x3f1, v17
	v_or_b32_e32 v6, 0x1000, v2
	v_med3_i32 v20, v20, 0, 13
	v_lshrrev_b32_e32 v25, v20, v6
	v_lshlrev_b32_e32 v20, v20, v25
	v_cmp_ne_u32_e32 vcc, v20, v6
	v_cndmask_b32_e64 v6, 0, 1, vcc
	v_add_u32_e32 v17, 0xfffffc10, v17
	v_cvt_f64_f32_e32 v[8:9], v0
	v_or_b32_e32 v6, v25, v6
	v_lshl_or_b32 v20, v17, 12, v2
	v_cmp_gt_i32_e32 vcc, 1, v17
	v_cndmask_b32_e32 v6, v20, v6, vcc
	v_and_b32_e32 v20, 7, v6
	v_cmp_lt_i32_e32 vcc, 5, v20
	v_cmp_eq_u32_e64 s[0:1], 3, v20
	v_mul_f64 v[8:9], v[8:9], s[14:15]
	v_lshrrev_b32_e32 v6, 2, v6
	s_or_b64 vcc, s[0:1], vcc
	v_addc_co_u32_e32 v0, vcc, 0, v6, vcc
	v_cmp_gt_i32_e32 vcc, 31, v17
	v_cndmask_b32_e32 v0, v7, v0, vcc
	v_cmp_ne_u32_e32 vcc, 0, v2
	v_cndmask_b32_e64 v2, 0, 1, vcc
	v_lshl_or_b32 v2, v2, 9, v7
	v_cmp_eq_u32_e32 vcc, s16, v17
	v_cndmask_b32_e32 v0, v0, v2, vcc
	v_lshrrev_b32_e32 v2, 16, v3
	v_and_or_b32 v0, v2, s10, v0
	v_and_or_b32 v2, v9, s18, v8
	v_cmp_ne_u32_e32 vcc, 0, v2
	v_cndmask_b32_e64 v2, 0, 1, vcc
	v_lshrrev_b32_e32 v3, 8, v9
	v_bfe_u32 v6, v9, 20, 11
	v_and_or_b32 v2, v3, s17, v2
	v_sub_u32_e32 v8, 0x3f1, v6
	v_or_b32_e32 v3, 0x1000, v2
	v_med3_i32 v8, v8, 0, 13
	v_lshrrev_b32_e32 v17, v8, v3
	v_lshlrev_b32_e32 v8, v8, v17
	v_cmp_ne_u32_e32 vcc, v8, v3
	v_cndmask_b32_e64 v3, 0, 1, vcc
	v_add_u32_e32 v6, 0xfffffc10, v6
	v_or_b32_e32 v3, v17, v3
	v_lshl_or_b32 v8, v6, 12, v2
	v_cmp_gt_i32_e32 vcc, 1, v6
	v_cndmask_b32_e32 v3, v8, v3, vcc
	v_and_b32_e32 v8, 7, v3
	v_cmp_lt_i32_e32 vcc, 5, v8
	v_cmp_eq_u32_e64 s[0:1], 3, v8
	v_lshrrev_b32_e32 v3, 2, v3
	s_or_b64 vcc, s[0:1], vcc
	v_addc_co_u32_e32 v3, vcc, 0, v3, vcc
	v_cmp_gt_i32_e32 vcc, 31, v6
	v_cndmask_b32_e32 v3, v7, v3, vcc
	v_cmp_ne_u32_e32 vcc, 0, v2
	v_cndmask_b32_e64 v2, 0, 1, vcc
	v_cmp_eq_u32_e32 vcc, s16, v6
	v_lshrrev_b32_e32 v6, 16, v1
	s_waitcnt vmcnt(6)
	v_mul_f16_sdwa v8, v6, v21 dst_sel:DWORD dst_unused:UNUSED_PAD src0_sel:DWORD src1_sel:WORD_1
	v_fma_f16 v8, v1, v21, v8
	v_cvt_f32_f16_e32 v8, v8
	v_lshl_or_b32 v2, v2, 9, v7
	v_cndmask_b32_e32 v2, v3, v2, vcc
	v_lshrrev_b32_e32 v3, 16, v9
	v_and_or_b32 v2, v3, s10, v2
	v_and_b32_e32 v0, 0xffff, v0
	v_lshl_or_b32 v0, v2, 16, v0
	v_cvt_f64_f32_e32 v[2:3], v8
	s_mul_i32 s0, s9, 12
	s_mul_hi_u32 s2, s8, 12
	s_add_i32 s2, s2, s0
	v_mul_f64 v[2:3], v[2:3], s[14:15]
	s_mul_i32 s3, s8, 12
	v_mov_b32_e32 v8, s2
	v_add_co_u32_e32 v4, vcc, s3, v4
	v_addc_co_u32_e32 v5, vcc, v5, v8, vcc
	global_store_dword v[4:5], v0, off
	v_and_or_b32 v0, v3, s18, v2
	v_cmp_ne_u32_e32 vcc, 0, v0
	v_cndmask_b32_e64 v0, 0, 1, vcc
	v_lshrrev_b32_e32 v2, 8, v3
	v_bfe_u32 v8, v3, 20, 11
	v_and_or_b32 v2, v2, s17, v0
	v_sub_u32_e32 v9, 0x3f1, v8
	v_or_b32_e32 v0, 0x1000, v2
	v_med3_i32 v9, v9, 0, 13
	v_lshrrev_b32_e32 v17, v9, v0
	v_mul_f16_sdwa v1, v1, v21 dst_sel:DWORD dst_unused:UNUSED_PAD src0_sel:DWORD src1_sel:WORD_1
	v_lshlrev_b32_e32 v9, v9, v17
	v_fma_f16 v1, v21, v6, -v1
	v_cmp_ne_u32_e32 vcc, v9, v0
	v_cvt_f32_f16_e32 v1, v1
	v_cndmask_b32_e64 v0, 0, 1, vcc
	v_add_u32_e32 v8, 0xfffffc10, v8
	v_or_b32_e32 v0, v17, v0
	v_lshl_or_b32 v9, v8, 12, v2
	v_cmp_gt_i32_e32 vcc, 1, v8
	v_cndmask_b32_e32 v0, v9, v0, vcc
	v_and_b32_e32 v9, 7, v0
	v_lshrrev_b32_e32 v6, 2, v0
	v_cvt_f64_f32_e32 v[0:1], v1
	v_cmp_lt_i32_e32 vcc, 5, v9
	v_cmp_eq_u32_e64 s[0:1], 3, v9
	s_or_b64 vcc, s[0:1], vcc
	v_mul_f64 v[0:1], v[0:1], s[14:15]
	v_addc_co_u32_e32 v6, vcc, 0, v6, vcc
	v_cmp_gt_i32_e32 vcc, 31, v8
	v_cndmask_b32_e32 v6, v7, v6, vcc
	v_cmp_ne_u32_e32 vcc, 0, v2
	v_cndmask_b32_e64 v2, 0, 1, vcc
	v_lshl_or_b32 v2, v2, 9, v7
	v_cmp_eq_u32_e32 vcc, s16, v8
	v_and_or_b32 v0, v1, s18, v0
	v_cndmask_b32_e32 v2, v6, v2, vcc
	v_lshrrev_b32_e32 v3, 16, v3
	v_cmp_ne_u32_e32 vcc, 0, v0
	v_and_or_b32 v6, v3, s10, v2
	v_cndmask_b32_e64 v0, 0, 1, vcc
	v_lshrrev_b32_e32 v2, 8, v1
	v_bfe_u32 v3, v1, 20, 11
	v_and_or_b32 v0, v2, s17, v0
	v_sub_u32_e32 v8, 0x3f1, v3
	v_or_b32_e32 v2, 0x1000, v0
	v_med3_i32 v8, v8, 0, 13
	v_lshrrev_b32_e32 v9, v8, v2
	v_lshlrev_b32_e32 v8, v8, v9
	ds_read2_b32 v[12:13], v14 offset0:9 offset1:12
	v_cmp_ne_u32_e32 vcc, v8, v2
	v_cndmask_b32_e64 v2, 0, 1, vcc
	v_add_u32_e32 v3, 0xfffffc10, v3
	v_or_b32_e32 v2, v9, v2
	v_lshl_or_b32 v8, v3, 12, v0
	v_cmp_gt_i32_e32 vcc, 1, v3
	v_cndmask_b32_e32 v2, v8, v2, vcc
	v_and_b32_e32 v8, 7, v2
	v_cmp_lt_i32_e32 vcc, 5, v8
	v_cmp_eq_u32_e64 s[0:1], 3, v8
	s_waitcnt lgkmcnt(0)
	v_lshrrev_b32_e32 v8, 16, v12
	v_lshrrev_b32_e32 v2, 2, v2
	s_or_b64 vcc, s[0:1], vcc
	s_waitcnt vmcnt(6)
	v_mul_f16_sdwa v9, v8, v22 dst_sel:DWORD dst_unused:UNUSED_PAD src0_sel:DWORD src1_sel:WORD_1
	v_addc_co_u32_e32 v2, vcc, 0, v2, vcc
	v_fma_f16 v9, v12, v22, v9
	v_cmp_gt_i32_e32 vcc, 31, v3
	v_cvt_f32_f16_e32 v9, v9
	v_cndmask_b32_e32 v2, v7, v2, vcc
	v_cmp_ne_u32_e32 vcc, 0, v0
	v_cndmask_b32_e64 v0, 0, 1, vcc
	v_lshl_or_b32 v0, v0, 9, v7
	v_cmp_eq_u32_e32 vcc, s16, v3
	v_cndmask_b32_e32 v0, v2, v0, vcc
	v_cvt_f64_f32_e32 v[2:3], v9
	v_lshrrev_b32_e32 v1, 16, v1
	v_and_or_b32 v9, v1, s10, v0
	v_and_b32_e32 v6, 0xffff, v6
	v_mul_f64 v[0:1], v[2:3], s[14:15]
	v_mov_b32_e32 v3, s2
	v_add_co_u32_e32 v2, vcc, s3, v4
	v_addc_co_u32_e32 v3, vcc, v5, v3, vcc
	v_lshl_or_b32 v6, v9, 16, v6
	global_store_dword v[2:3], v6, off
	v_and_or_b32 v0, v1, s18, v0
	v_cmp_ne_u32_e32 vcc, 0, v0
	v_cndmask_b32_e64 v0, 0, 1, vcc
	v_lshrrev_b32_e32 v4, 8, v1
	v_bfe_u32 v5, v1, 20, 11
	v_and_or_b32 v0, v4, s17, v0
	v_sub_u32_e32 v6, 0x3f1, v5
	v_or_b32_e32 v4, 0x1000, v0
	v_med3_i32 v6, v6, 0, 13
	v_lshrrev_b32_e32 v9, v6, v4
	v_lshlrev_b32_e32 v6, v6, v9
	v_cmp_ne_u32_e32 vcc, v6, v4
	v_cndmask_b32_e64 v4, 0, 1, vcc
	v_or_b32_e32 v4, v9, v4
	v_mul_f16_sdwa v9, v12, v22 dst_sel:DWORD dst_unused:UNUSED_PAD src0_sel:DWORD src1_sel:WORD_1
	v_fma_f16 v8, v22, v8, -v9
	v_add_u32_e32 v6, 0xfffffc10, v5
	v_cvt_f32_f16_e32 v8, v8
	v_lshl_or_b32 v5, v6, 12, v0
	v_cmp_gt_i32_e32 vcc, 1, v6
	v_cndmask_b32_e32 v4, v5, v4, vcc
	v_and_b32_e32 v5, 7, v4
	v_cmp_lt_i32_e32 vcc, 5, v5
	v_cmp_eq_u32_e64 s[0:1], 3, v5
	v_lshrrev_b32_e32 v9, 2, v4
	v_cvt_f64_f32_e32 v[4:5], v8
	s_or_b64 vcc, s[0:1], vcc
	v_addc_co_u32_e32 v8, vcc, 0, v9, vcc
	v_mul_f64 v[4:5], v[4:5], s[14:15]
	v_cmp_gt_i32_e32 vcc, 31, v6
	v_cndmask_b32_e32 v8, v7, v8, vcc
	v_cmp_ne_u32_e32 vcc, 0, v0
	v_cndmask_b32_e64 v0, 0, 1, vcc
	v_lshl_or_b32 v0, v0, 9, v7
	v_cmp_eq_u32_e32 vcc, s16, v6
	v_cndmask_b32_e32 v0, v8, v0, vcc
	v_lshrrev_b32_e32 v1, 16, v1
	v_and_or_b32 v6, v1, s10, v0
	v_and_or_b32 v0, v5, s18, v4
	v_cmp_ne_u32_e32 vcc, 0, v0
	v_cndmask_b32_e64 v0, 0, 1, vcc
	v_lshrrev_b32_e32 v1, 8, v5
	v_bfe_u32 v4, v5, 20, 11
	v_and_or_b32 v0, v1, s17, v0
	v_sub_u32_e32 v8, 0x3f1, v4
	v_or_b32_e32 v1, 0x1000, v0
	v_med3_i32 v8, v8, 0, 13
	v_lshrrev_b32_e32 v9, v8, v1
	v_lshlrev_b32_e32 v8, v8, v9
	v_cmp_ne_u32_e32 vcc, v8, v1
	v_cndmask_b32_e64 v1, 0, 1, vcc
	v_add_u32_e32 v4, 0xfffffc10, v4
	v_or_b32_e32 v1, v9, v1
	v_lshl_or_b32 v8, v4, 12, v0
	v_cmp_gt_i32_e32 vcc, 1, v4
	v_cndmask_b32_e32 v1, v8, v1, vcc
	v_and_b32_e32 v8, 7, v1
	v_cmp_lt_i32_e32 vcc, 5, v8
	v_cmp_eq_u32_e64 s[0:1], 3, v8
	v_lshrrev_b32_e32 v8, 16, v13
	v_lshrrev_b32_e32 v1, 2, v1
	s_or_b64 vcc, s[0:1], vcc
	s_waitcnt vmcnt(6)
	v_mul_f16_sdwa v9, v8, v23 dst_sel:DWORD dst_unused:UNUSED_PAD src0_sel:DWORD src1_sel:WORD_1
	v_addc_co_u32_e32 v1, vcc, 0, v1, vcc
	v_fma_f16 v9, v13, v23, v9
	v_cmp_gt_i32_e32 vcc, 31, v4
	v_cvt_f32_f16_e32 v9, v9
	v_cndmask_b32_e32 v1, v7, v1, vcc
	v_cmp_ne_u32_e32 vcc, 0, v0
	v_cndmask_b32_e64 v0, 0, 1, vcc
	v_lshl_or_b32 v0, v0, 9, v7
	v_cmp_eq_u32_e32 vcc, s16, v4
	v_cndmask_b32_e32 v4, v1, v0, vcc
	v_cvt_f64_f32_e32 v[0:1], v9
	v_lshrrev_b32_e32 v5, 16, v5
	v_and_or_b32 v4, v5, s10, v4
	v_and_b32_e32 v5, 0xffff, v6
	v_mul_f64 v[0:1], v[0:1], s[14:15]
	v_lshl_or_b32 v4, v4, 16, v5
	v_mov_b32_e32 v5, s2
	v_add_co_u32_e32 v2, vcc, s3, v2
	v_addc_co_u32_e32 v3, vcc, v3, v5, vcc
	global_store_dword v[2:3], v4, off
	v_and_or_b32 v0, v1, s18, v0
	v_cmp_ne_u32_e32 vcc, 0, v0
	v_cndmask_b32_e64 v0, 0, 1, vcc
	v_lshrrev_b32_e32 v4, 8, v1
	v_bfe_u32 v5, v1, 20, 11
	v_and_or_b32 v0, v4, s17, v0
	v_sub_u32_e32 v6, 0x3f1, v5
	v_or_b32_e32 v4, 0x1000, v0
	v_med3_i32 v6, v6, 0, 13
	v_lshrrev_b32_e32 v9, v6, v4
	v_lshlrev_b32_e32 v6, v6, v9
	v_cmp_ne_u32_e32 vcc, v6, v4
	v_cndmask_b32_e64 v4, 0, 1, vcc
	v_or_b32_e32 v4, v9, v4
	v_mul_f16_sdwa v9, v13, v23 dst_sel:DWORD dst_unused:UNUSED_PAD src0_sel:DWORD src1_sel:WORD_1
	v_fma_f16 v8, v23, v8, -v9
	v_add_u32_e32 v6, 0xfffffc10, v5
	v_cvt_f32_f16_e32 v8, v8
	v_lshl_or_b32 v5, v6, 12, v0
	v_cmp_gt_i32_e32 vcc, 1, v6
	v_cndmask_b32_e32 v4, v5, v4, vcc
	v_and_b32_e32 v5, 7, v4
	v_cmp_lt_i32_e32 vcc, 5, v5
	v_cmp_eq_u32_e64 s[0:1], 3, v5
	v_lshrrev_b32_e32 v9, 2, v4
	v_cvt_f64_f32_e32 v[4:5], v8
	s_or_b64 vcc, s[0:1], vcc
	v_addc_co_u32_e32 v8, vcc, 0, v9, vcc
	v_mul_f64 v[4:5], v[4:5], s[14:15]
	v_cmp_gt_i32_e32 vcc, 31, v6
	v_cndmask_b32_e32 v8, v7, v8, vcc
	v_cmp_ne_u32_e32 vcc, 0, v0
	v_cndmask_b32_e64 v0, 0, 1, vcc
	v_lshl_or_b32 v0, v0, 9, v7
	v_cmp_eq_u32_e32 vcc, s16, v6
	v_cndmask_b32_e32 v0, v8, v0, vcc
	v_lshrrev_b32_e32 v1, 16, v1
	v_and_or_b32 v6, v1, s10, v0
	v_and_or_b32 v0, v5, s18, v4
	v_cmp_ne_u32_e32 vcc, 0, v0
	v_cndmask_b32_e64 v0, 0, 1, vcc
	v_lshrrev_b32_e32 v1, 8, v5
	v_bfe_u32 v4, v5, 20, 11
	v_and_or_b32 v0, v1, s17, v0
	v_sub_u32_e32 v8, 0x3f1, v4
	v_or_b32_e32 v1, 0x1000, v0
	v_med3_i32 v8, v8, 0, 13
	v_lshrrev_b32_e32 v9, v8, v1
	v_lshlrev_b32_e32 v8, v8, v9
	v_cmp_ne_u32_e32 vcc, v8, v1
	v_cndmask_b32_e64 v1, 0, 1, vcc
	v_add_u32_e32 v4, 0xfffffc10, v4
	v_or_b32_e32 v1, v9, v1
	v_lshl_or_b32 v8, v4, 12, v0
	v_cmp_gt_i32_e32 vcc, 1, v4
	v_cndmask_b32_e32 v1, v8, v1, vcc
	v_and_b32_e32 v8, 7, v1
	v_cmp_lt_i32_e32 vcc, 5, v8
	v_cmp_eq_u32_e64 s[0:1], 3, v8
	ds_read2_b32 v[8:9], v14 offset0:15 offset1:18
	v_lshrrev_b32_e32 v1, 2, v1
	s_or_b64 vcc, s[0:1], vcc
	v_addc_co_u32_e32 v1, vcc, 0, v1, vcc
	v_cmp_gt_i32_e32 vcc, 31, v4
	v_cndmask_b32_e32 v12, v7, v1, vcc
	v_cmp_ne_u32_e32 vcc, 0, v0
	s_waitcnt lgkmcnt(0)
	v_lshrrev_b32_e32 v14, 16, v8
	v_cndmask_b32_e64 v13, 0, 1, vcc
	v_cmp_eq_u32_e32 vcc, s16, v4
	s_waitcnt vmcnt(6)
	v_mul_f16_sdwa v4, v14, v24 dst_sel:DWORD dst_unused:UNUSED_PAD src0_sel:DWORD src1_sel:WORD_1
	v_fma_f16 v4, v8, v24, v4
	v_mad_u64_u32 v[0:1], s[0:1], s8, v11, 0
	v_cvt_f32_f16_e32 v4, v4
	v_lshl_or_b32 v13, v13, 9, v7
	v_cndmask_b32_e32 v13, v12, v13, vcc
	v_mad_u64_u32 v[11:12], s[0:1], s9, v11, v[1:2]
	v_lshrrev_b32_e32 v1, 16, v5
	v_cvt_f64_f32_e32 v[4:5], v4
	v_and_or_b32 v12, v1, s10, v13
	v_mov_b32_e32 v1, v11
	v_lshlrev_b64 v[0:1], 2, v[0:1]
	v_mul_f64 v[4:5], v[4:5], s[14:15]
	v_and_b32_e32 v6, 0xffff, v6
	v_add_co_u32_e32 v0, vcc, v19, v0
	v_lshl_or_b32 v6, v12, 16, v6
	v_addc_co_u32_e32 v1, vcc, v18, v1, vcc
	global_store_dword v[0:1], v6, off
	v_and_or_b32 v0, v5, s18, v4
	v_cmp_ne_u32_e32 vcc, 0, v0
	v_cndmask_b32_e64 v0, 0, 1, vcc
	v_lshrrev_b32_e32 v1, 8, v5
	v_and_or_b32 v4, v1, s17, v0
	v_bfe_u32 v1, v5, 20, 11
	v_sub_u32_e32 v6, 0x3f1, v1
	v_or_b32_e32 v0, 0x1000, v4
	v_med3_i32 v6, v6, 0, 13
	v_lshrrev_b32_e32 v11, v6, v0
	v_lshlrev_b32_e32 v6, v6, v11
	v_mul_f16_sdwa v8, v8, v24 dst_sel:DWORD dst_unused:UNUSED_PAD src0_sel:DWORD src1_sel:WORD_1
	v_cmp_ne_u32_e32 vcc, v6, v0
	v_fma_f16 v8, v24, v14, -v8
	v_cndmask_b32_e64 v0, 0, 1, vcc
	v_add_u32_e32 v6, 0xfffffc10, v1
	v_cvt_f32_f16_e32 v8, v8
	v_or_b32_e32 v0, v11, v0
	v_lshl_or_b32 v1, v6, 12, v4
	v_cmp_gt_i32_e32 vcc, 1, v6
	v_cndmask_b32_e32 v0, v1, v0, vcc
	v_and_b32_e32 v1, 7, v0
	v_cmp_lt_i32_e32 vcc, 5, v1
	v_cmp_eq_u32_e64 s[0:1], 3, v1
	v_lshrrev_b32_e32 v11, 2, v0
	v_cvt_f64_f32_e32 v[0:1], v8
	s_or_b64 vcc, s[0:1], vcc
	v_addc_co_u32_e32 v8, vcc, 0, v11, vcc
	v_mul_f64 v[0:1], v[0:1], s[14:15]
	v_cmp_gt_i32_e32 vcc, 31, v6
	v_cndmask_b32_e32 v8, v7, v8, vcc
	v_cmp_ne_u32_e32 vcc, 0, v4
	v_cndmask_b32_e64 v4, 0, 1, vcc
	v_lshl_or_b32 v4, v4, 9, v7
	v_cmp_eq_u32_e32 vcc, s16, v6
	v_cndmask_b32_e32 v4, v8, v4, vcc
	v_and_or_b32 v0, v1, s18, v0
	v_lshrrev_b32_e32 v5, 16, v5
	v_cmp_ne_u32_e32 vcc, 0, v0
	v_and_or_b32 v6, v5, s10, v4
	v_cndmask_b32_e64 v0, 0, 1, vcc
	v_lshrrev_b32_e32 v4, 8, v1
	v_bfe_u32 v5, v1, 20, 11
	v_and_or_b32 v0, v4, s17, v0
	v_sub_u32_e32 v8, 0x3f1, v5
	v_or_b32_e32 v4, 0x1000, v0
	v_med3_i32 v8, v8, 0, 13
	v_lshrrev_b32_e32 v11, v8, v4
	v_lshlrev_b32_e32 v8, v8, v11
	v_cmp_ne_u32_e32 vcc, v8, v4
	v_cndmask_b32_e64 v4, 0, 1, vcc
	v_add_u32_e32 v8, 0xfffffc10, v5
	v_or_b32_e32 v4, v11, v4
	v_lshl_or_b32 v5, v8, 12, v0
	v_cmp_gt_i32_e32 vcc, 1, v8
	v_cndmask_b32_e32 v4, v5, v4, vcc
	v_and_b32_e32 v5, 7, v4
	v_cmp_lt_i32_e32 vcc, 5, v5
	v_cmp_eq_u32_e64 s[0:1], 3, v5
	v_lshrrev_b32_e32 v4, 2, v4
	s_or_b64 vcc, s[0:1], vcc
	v_addc_co_u32_e32 v4, vcc, 0, v4, vcc
	v_cmp_gt_i32_e32 vcc, 31, v8
	v_lshrrev_b32_e32 v12, 16, v9
	v_cndmask_b32_e32 v11, v7, v4, vcc
	s_waitcnt vmcnt(6)
	v_mul_f16_sdwa v4, v12, v16 dst_sel:DWORD dst_unused:UNUSED_PAD src0_sel:DWORD src1_sel:WORD_1
	v_fma_f16 v4, v9, v16, v4
	v_cvt_f32_f16_e32 v4, v4
	v_mad_u64_u32 v[2:3], s[0:1], s8, 24, v[2:3]
	v_cmp_ne_u32_e32 vcc, 0, v0
	v_cvt_f64_f32_e32 v[4:5], v4
	v_cndmask_b32_e64 v0, 0, 1, vcc
	v_lshl_or_b32 v0, v0, 9, v7
	v_cmp_eq_u32_e32 vcc, s16, v8
	v_mul_f64 v[4:5], v[4:5], s[14:15]
	v_cndmask_b32_e32 v8, v11, v0, vcc
	v_mov_b32_e32 v0, v3
	v_lshrrev_b32_e32 v11, 16, v1
	v_mad_u64_u32 v[0:1], s[0:1], s9, 24, v[0:1]
	v_and_or_b32 v1, v11, s10, v8
	v_and_b32_e32 v3, 0xffff, v6
	v_lshl_or_b32 v1, v1, 16, v3
	v_mov_b32_e32 v3, v0
	v_and_or_b32 v0, v5, s18, v4
	v_cmp_ne_u32_e32 vcc, 0, v0
	global_store_dword v[2:3], v1, off
	v_cndmask_b32_e64 v0, 0, 1, vcc
	v_lshrrev_b32_e32 v1, 8, v5
	v_and_or_b32 v4, v1, s17, v0
	v_bfe_u32 v1, v5, 20, 11
	v_sub_u32_e32 v6, 0x3f1, v1
	v_or_b32_e32 v0, 0x1000, v4
	v_med3_i32 v6, v6, 0, 13
	v_lshrrev_b32_e32 v8, v6, v0
	v_lshlrev_b32_e32 v6, v6, v8
	v_cmp_ne_u32_e32 vcc, v6, v0
	v_cndmask_b32_e64 v0, 0, 1, vcc
	v_or_b32_e32 v0, v8, v0
	v_mul_f16_sdwa v8, v9, v16 dst_sel:DWORD dst_unused:UNUSED_PAD src0_sel:DWORD src1_sel:WORD_1
	v_fma_f16 v8, v16, v12, -v8
	v_add_u32_e32 v6, 0xfffffc10, v1
	v_cvt_f32_f16_e32 v8, v8
	v_lshl_or_b32 v1, v6, 12, v4
	v_cmp_gt_i32_e32 vcc, 1, v6
	v_cndmask_b32_e32 v0, v1, v0, vcc
	v_and_b32_e32 v1, 7, v0
	v_cmp_lt_i32_e32 vcc, 5, v1
	v_cmp_eq_u32_e64 s[0:1], 3, v1
	v_lshrrev_b32_e32 v9, 2, v0
	v_cvt_f64_f32_e32 v[0:1], v8
	s_or_b64 vcc, s[0:1], vcc
	v_addc_co_u32_e32 v8, vcc, 0, v9, vcc
	v_mul_f64 v[0:1], v[0:1], s[14:15]
	v_cmp_gt_i32_e32 vcc, 31, v6
	v_cndmask_b32_e32 v8, v7, v8, vcc
	v_cmp_ne_u32_e32 vcc, 0, v4
	v_cndmask_b32_e64 v4, 0, 1, vcc
	v_lshl_or_b32 v4, v4, 9, v7
	v_cmp_eq_u32_e32 vcc, s16, v6
	v_cndmask_b32_e32 v4, v8, v4, vcc
	v_and_or_b32 v0, v1, s18, v0
	v_lshrrev_b32_e32 v5, 16, v5
	v_cmp_ne_u32_e32 vcc, 0, v0
	v_and_or_b32 v6, v5, s10, v4
	v_cndmask_b32_e64 v0, 0, 1, vcc
	v_lshrrev_b32_e32 v4, 8, v1
	v_bfe_u32 v5, v1, 20, 11
	v_and_or_b32 v0, v4, s17, v0
	v_sub_u32_e32 v8, 0x3f1, v5
	v_or_b32_e32 v4, 0x1000, v0
	v_med3_i32 v8, v8, 0, 13
	v_lshrrev_b32_e32 v9, v8, v4
	v_lshlrev_b32_e32 v8, v8, v9
	v_cmp_ne_u32_e32 vcc, v8, v4
	v_cndmask_b32_e64 v4, 0, 1, vcc
	v_add_u32_e32 v5, 0xfffffc10, v5
	v_or_b32_e32 v4, v9, v4
	v_lshl_or_b32 v8, v5, 12, v0
	v_cmp_gt_i32_e32 vcc, 1, v5
	v_cndmask_b32_e32 v4, v8, v4, vcc
	v_and_b32_e32 v8, 7, v4
	v_cmp_lt_i32_e32 vcc, 5, v8
	v_cmp_eq_u32_e64 s[0:1], 3, v8
	v_lshrrev_b32_e32 v8, 16, v10
	v_lshrrev_b32_e32 v4, 2, v4
	s_or_b64 vcc, s[0:1], vcc
	s_waitcnt vmcnt(6)
	v_mul_f16_sdwa v9, v8, v15 dst_sel:DWORD dst_unused:UNUSED_PAD src0_sel:DWORD src1_sel:WORD_1
	v_addc_co_u32_e32 v4, vcc, 0, v4, vcc
	v_fma_f16 v9, v10, v15, v9
	v_cmp_gt_i32_e32 vcc, 31, v5
	v_cvt_f32_f16_e32 v9, v9
	v_cndmask_b32_e32 v4, v7, v4, vcc
	v_cmp_ne_u32_e32 vcc, 0, v0
	v_cndmask_b32_e64 v0, 0, 1, vcc
	v_lshl_or_b32 v0, v0, 9, v7
	v_cmp_eq_u32_e32 vcc, s16, v5
	v_cndmask_b32_e32 v0, v4, v0, vcc
	v_cvt_f64_f32_e32 v[4:5], v9
	v_lshrrev_b32_e32 v1, 16, v1
	v_and_or_b32 v9, v1, s10, v0
	v_add_co_u32_e32 v2, vcc, s3, v2
	v_mul_f64 v[0:1], v[4:5], s[14:15]
	v_mov_b32_e32 v5, s2
	v_and_b32_e32 v6, 0xffff, v6
	v_addc_co_u32_e32 v3, vcc, v3, v5, vcc
	v_lshl_or_b32 v4, v9, 16, v6
	global_store_dword v[2:3], v4, off
	v_and_or_b32 v0, v1, s18, v0
	v_cmp_ne_u32_e32 vcc, 0, v0
	v_cndmask_b32_e64 v0, 0, 1, vcc
	v_lshrrev_b32_e32 v4, 8, v1
	v_bfe_u32 v5, v1, 20, 11
	v_and_or_b32 v0, v4, s17, v0
	v_sub_u32_e32 v6, 0x3f1, v5
	v_or_b32_e32 v4, 0x1000, v0
	v_med3_i32 v6, v6, 0, 13
	v_lshrrev_b32_e32 v9, v6, v4
	v_lshlrev_b32_e32 v6, v6, v9
	v_cmp_ne_u32_e32 vcc, v6, v4
	v_cndmask_b32_e64 v4, 0, 1, vcc
	v_or_b32_e32 v4, v9, v4
	v_mul_f16_sdwa v9, v10, v15 dst_sel:DWORD dst_unused:UNUSED_PAD src0_sel:DWORD src1_sel:WORD_1
	v_fma_f16 v8, v15, v8, -v9
	v_add_u32_e32 v6, 0xfffffc10, v5
	v_cvt_f32_f16_e32 v8, v8
	v_lshl_or_b32 v5, v6, 12, v0
	v_cmp_gt_i32_e32 vcc, 1, v6
	v_cndmask_b32_e32 v4, v5, v4, vcc
	v_and_b32_e32 v5, 7, v4
	v_cmp_lt_i32_e32 vcc, 5, v5
	v_cmp_eq_u32_e64 s[0:1], 3, v5
	v_lshrrev_b32_e32 v9, 2, v4
	v_cvt_f64_f32_e32 v[4:5], v8
	s_or_b64 vcc, s[0:1], vcc
	v_addc_co_u32_e32 v8, vcc, 0, v9, vcc
	v_mul_f64 v[4:5], v[4:5], s[14:15]
	v_cmp_gt_i32_e32 vcc, 31, v6
	v_cndmask_b32_e32 v8, v7, v8, vcc
	v_cmp_ne_u32_e32 vcc, 0, v0
	v_cndmask_b32_e64 v0, 0, 1, vcc
	v_lshl_or_b32 v0, v0, 9, v7
	v_cmp_eq_u32_e32 vcc, s16, v6
	v_cndmask_b32_e32 v0, v8, v0, vcc
	v_lshrrev_b32_e32 v1, 16, v1
	v_and_or_b32 v0, v1, s10, v0
	v_and_or_b32 v1, v5, s18, v4
	v_cmp_ne_u32_e32 vcc, 0, v1
	v_cndmask_b32_e64 v1, 0, 1, vcc
	v_lshrrev_b32_e32 v4, 8, v5
	v_bfe_u32 v6, v5, 20, 11
	v_and_or_b32 v1, v4, s17, v1
	v_sub_u32_e32 v8, 0x3f1, v6
	v_or_b32_e32 v4, 0x1000, v1
	v_med3_i32 v8, v8, 0, 13
	v_lshrrev_b32_e32 v9, v8, v4
	v_lshlrev_b32_e32 v8, v8, v9
	v_cmp_ne_u32_e32 vcc, v8, v4
	v_cndmask_b32_e64 v4, 0, 1, vcc
	v_add_u32_e32 v6, 0xfffffc10, v6
	v_or_b32_e32 v4, v9, v4
	v_lshl_or_b32 v8, v6, 12, v1
	v_cmp_gt_i32_e32 vcc, 1, v6
	v_cndmask_b32_e32 v4, v8, v4, vcc
	v_and_b32_e32 v8, 7, v4
	v_cmp_lt_i32_e32 vcc, 5, v8
	v_cmp_eq_u32_e64 s[0:1], 3, v8
	v_lshrrev_b32_e32 v4, 2, v4
	s_or_b64 vcc, s[0:1], vcc
	v_addc_co_u32_e32 v4, vcc, 0, v4, vcc
	v_cmp_gt_i32_e32 vcc, 31, v6
	v_cndmask_b32_e32 v4, v7, v4, vcc
	v_cmp_ne_u32_e32 vcc, 0, v1
	v_cndmask_b32_e64 v1, 0, 1, vcc
	v_lshl_or_b32 v1, v1, 9, v7
	v_cmp_eq_u32_e32 vcc, s16, v6
	v_cndmask_b32_e32 v1, v4, v1, vcc
	v_lshrrev_b32_e32 v4, 16, v5
	v_and_or_b32 v1, v4, s10, v1
	v_and_b32_e32 v0, 0xffff, v0
	v_lshl_or_b32 v4, v1, 16, v0
	v_mov_b32_e32 v1, s2
	v_add_co_u32_e32 v0, vcc, s3, v2
	v_addc_co_u32_e32 v1, vcc, v3, v1, vcc
	global_store_dword v[0:1], v4, off
.LBB0_15:
	s_endpgm
	.section	.rodata,"a",@progbits
	.p2align	6, 0x0
	.amdhsa_kernel bluestein_single_back_len24_dim1_half_op_CI_CI
		.amdhsa_group_segment_fixed_size 3072
		.amdhsa_private_segment_fixed_size 0
		.amdhsa_kernarg_size 104
		.amdhsa_user_sgpr_count 6
		.amdhsa_user_sgpr_private_segment_buffer 1
		.amdhsa_user_sgpr_dispatch_ptr 0
		.amdhsa_user_sgpr_queue_ptr 0
		.amdhsa_user_sgpr_kernarg_segment_ptr 1
		.amdhsa_user_sgpr_dispatch_id 0
		.amdhsa_user_sgpr_flat_scratch_init 0
		.amdhsa_user_sgpr_private_segment_size 0
		.amdhsa_uses_dynamic_stack 0
		.amdhsa_system_sgpr_private_segment_wavefront_offset 0
		.amdhsa_system_sgpr_workgroup_id_x 1
		.amdhsa_system_sgpr_workgroup_id_y 0
		.amdhsa_system_sgpr_workgroup_id_z 0
		.amdhsa_system_sgpr_workgroup_info 0
		.amdhsa_system_vgpr_workitem_id 0
		.amdhsa_next_free_vgpr 54
		.amdhsa_next_free_sgpr 19
		.amdhsa_reserve_vcc 1
		.amdhsa_reserve_flat_scratch 0
		.amdhsa_float_round_mode_32 0
		.amdhsa_float_round_mode_16_64 0
		.amdhsa_float_denorm_mode_32 3
		.amdhsa_float_denorm_mode_16_64 3
		.amdhsa_dx10_clamp 1
		.amdhsa_ieee_mode 1
		.amdhsa_fp16_overflow 0
		.amdhsa_exception_fp_ieee_invalid_op 0
		.amdhsa_exception_fp_denorm_src 0
		.amdhsa_exception_fp_ieee_div_zero 0
		.amdhsa_exception_fp_ieee_overflow 0
		.amdhsa_exception_fp_ieee_underflow 0
		.amdhsa_exception_fp_ieee_inexact 0
		.amdhsa_exception_int_div_zero 0
	.end_amdhsa_kernel
	.text
.Lfunc_end0:
	.size	bluestein_single_back_len24_dim1_half_op_CI_CI, .Lfunc_end0-bluestein_single_back_len24_dim1_half_op_CI_CI
                                        ; -- End function
	.section	.AMDGPU.csdata,"",@progbits
; Kernel info:
; codeLenInByte = 7344
; NumSgprs: 23
; NumVgprs: 54
; ScratchSize: 0
; MemoryBound: 0
; FloatMode: 240
; IeeeMode: 1
; LDSByteSize: 3072 bytes/workgroup (compile time only)
; SGPRBlocks: 2
; VGPRBlocks: 13
; NumSGPRsForWavesPerEU: 23
; NumVGPRsForWavesPerEU: 54
; Occupancy: 4
; WaveLimiterHint : 1
; COMPUTE_PGM_RSRC2:SCRATCH_EN: 0
; COMPUTE_PGM_RSRC2:USER_SGPR: 6
; COMPUTE_PGM_RSRC2:TRAP_HANDLER: 0
; COMPUTE_PGM_RSRC2:TGID_X_EN: 1
; COMPUTE_PGM_RSRC2:TGID_Y_EN: 0
; COMPUTE_PGM_RSRC2:TGID_Z_EN: 0
; COMPUTE_PGM_RSRC2:TIDIG_COMP_CNT: 0
	.type	__hip_cuid_600a7adeeaed5dfa,@object ; @__hip_cuid_600a7adeeaed5dfa
	.section	.bss,"aw",@nobits
	.globl	__hip_cuid_600a7adeeaed5dfa
__hip_cuid_600a7adeeaed5dfa:
	.byte	0                               ; 0x0
	.size	__hip_cuid_600a7adeeaed5dfa, 1

	.ident	"AMD clang version 19.0.0git (https://github.com/RadeonOpenCompute/llvm-project roc-6.4.0 25133 c7fe45cf4b819c5991fe208aaa96edf142730f1d)"
	.section	".note.GNU-stack","",@progbits
	.addrsig
	.addrsig_sym __hip_cuid_600a7adeeaed5dfa
	.amdgpu_metadata
---
amdhsa.kernels:
  - .args:
      - .actual_access:  read_only
        .address_space:  global
        .offset:         0
        .size:           8
        .value_kind:     global_buffer
      - .actual_access:  read_only
        .address_space:  global
        .offset:         8
        .size:           8
        .value_kind:     global_buffer
      - .actual_access:  read_only
        .address_space:  global
        .offset:         16
        .size:           8
        .value_kind:     global_buffer
      - .actual_access:  read_only
        .address_space:  global
        .offset:         24
        .size:           8
        .value_kind:     global_buffer
      - .actual_access:  read_only
        .address_space:  global
        .offset:         32
        .size:           8
        .value_kind:     global_buffer
      - .offset:         40
        .size:           8
        .value_kind:     by_value
      - .address_space:  global
        .offset:         48
        .size:           8
        .value_kind:     global_buffer
      - .address_space:  global
        .offset:         56
        .size:           8
        .value_kind:     global_buffer
      - .address_space:  global
        .offset:         64
        .size:           8
        .value_kind:     global_buffer
      - .address_space:  global
        .offset:         72
        .size:           8
        .value_kind:     global_buffer
      - .offset:         80
        .size:           4
        .value_kind:     by_value
      - .address_space:  global
        .offset:         88
        .size:           8
        .value_kind:     global_buffer
      - .address_space:  global
        .offset:         96
        .size:           8
        .value_kind:     global_buffer
    .group_segment_fixed_size: 3072
    .kernarg_segment_align: 8
    .kernarg_segment_size: 104
    .language:       OpenCL C
    .language_version:
      - 2
      - 0
    .max_flat_workgroup_size: 256
    .name:           bluestein_single_back_len24_dim1_half_op_CI_CI
    .private_segment_fixed_size: 0
    .sgpr_count:     23
    .sgpr_spill_count: 0
    .symbol:         bluestein_single_back_len24_dim1_half_op_CI_CI.kd
    .uniform_work_group_size: 1
    .uses_dynamic_stack: false
    .vgpr_count:     54
    .vgpr_spill_count: 0
    .wavefront_size: 64
amdhsa.target:   amdgcn-amd-amdhsa--gfx906
amdhsa.version:
  - 1
  - 2
...

	.end_amdgpu_metadata
